;; amdgpu-corpus repo=ROCm/HIPIFY kind=compiled arch=gfx906 opt=O3
	.amdgcn_target "amdgcn-amd-amdhsa--gfx906"
	.amdhsa_code_object_version 6
	.text
	.protected	_Z12computeJuliaPi15HIP_vector_typeIfLj2EEf ; -- Begin function _Z12computeJuliaPi15HIP_vector_typeIfLj2EEf
	.globl	_Z12computeJuliaPi15HIP_vector_typeIfLj2EEf
	.p2align	8
	.type	_Z12computeJuliaPi15HIP_vector_typeIfLj2EEf,@function
_Z12computeJuliaPi15HIP_vector_typeIfLj2EEf: ; @_Z12computeJuliaPi15HIP_vector_typeIfLj2EEf
; %bb.0:
	s_load_dword s0, s[4:5], 0x24
	s_waitcnt lgkmcnt(0)
	s_lshr_b32 s1, s0, 16
	s_and_b32 s0, s0, 0xffff
	s_mul_i32 s6, s6, s0
	s_mul_i32 s7, s7, s1
	v_add_u32_e32 v2, s6, v0
	v_add_u32_e32 v0, s7, v1
	s_movk_i32 s0, 0x64
	v_cmp_gt_i32_e32 vcc, s0, v2
	v_cmp_gt_i32_e64 s[0:1], 40, v0
	s_and_b64 s[0:1], vcc, s[0:1]
	s_and_saveexec_b64 s[2:3], s[0:1]
	s_cbranch_execz .LBB0_22
; %bb.1:
	s_load_dword s0, s[4:5], 0x10
	v_subrev_u32_e32 v1, 50, v2
	v_cvt_f64_i32_e32 v[5:6], v1
	s_mov_b32 s2, 0
	s_mov_b32 s3, 0x40590000
	s_waitcnt lgkmcnt(0)
	v_cvt_f64_f32_e32 v[3:4], s0
	s_mov_b32 s0, 0
	s_mov_b32 s1, 0x3ff80000
	v_mul_f64 v[5:6], v[5:6], s[0:1]
	v_mul_f64 v[3:4], v[3:4], 0.5
	v_subrev_u32_e32 v1, 20, v0
	v_cvt_f64_i32_e32 v[17:18], v1
	s_mov_b32 s6, 0xf800000
	v_mul_f64 v[7:8], v[3:4], s[2:3]
	v_div_scale_f64 v[9:10], s[0:1], v[7:8], v[7:8], v[5:6]
	s_mov_b32 s0, 0
	s_mov_b32 s1, 0x40440000
	v_mul_f64 v[3:4], v[3:4], s[0:1]
	v_rcp_f64_e32 v[11:12], v[9:10]
	v_fma_f64 v[13:14], -v[9:10], v[11:12], 1.0
	v_fma_f64 v[11:12], v[11:12], v[13:14], v[11:12]
	v_div_scale_f64 v[13:14], vcc, v[5:6], v[7:8], v[5:6]
	v_fma_f64 v[15:16], -v[9:10], v[11:12], 1.0
	v_fma_f64 v[11:12], v[11:12], v[15:16], v[11:12]
	v_mul_f64 v[15:16], v[13:14], v[11:12]
	v_fma_f64 v[9:10], -v[9:10], v[15:16], v[13:14]
	v_div_scale_f64 v[13:14], s[0:1], v[3:4], v[3:4], v[17:18]
	v_div_fmas_f64 v[9:10], v[9:10], v[11:12], v[15:16]
	v_rcp_f64_e32 v[11:12], v[13:14]
	v_div_fixup_f64 v[5:6], v[9:10], v[7:8], v[5:6]
	v_add_f64 v[5:6], v[5:6], 2.0
	v_fma_f64 v[15:16], -v[13:14], v[11:12], 1.0
	v_cvt_f32_f64_e32 v5, v[5:6]
	v_fma_f64 v[11:12], v[11:12], v[15:16], v[11:12]
	v_fma_f64 v[15:16], -v[13:14], v[11:12], 1.0
	v_fma_f64 v[11:12], v[11:12], v[15:16], v[11:12]
	v_div_scale_f64 v[15:16], vcc, v[17:18], v[3:4], v[17:18]
	v_mul_f64 v[19:20], v[15:16], v[11:12]
	v_fma_f64 v[13:14], -v[13:14], v[19:20], v[15:16]
	s_nop 1
	v_div_fmas_f64 v[11:12], v[13:14], v[11:12], v[19:20]
	v_div_fixup_f64 v[3:4], v[11:12], v[3:4], v[17:18]
	v_add_f64 v[3:4], v[3:4], 1.0
	v_cvt_f32_f64_e32 v4, v[3:4]
	v_mul_f32_e32 v6, v4, v4
	v_fma_f32 v1, v5, v5, v6
	v_mul_f32_e32 v3, 0x4f800000, v1
	v_cmp_gt_f32_e32 vcc, s6, v1
	v_cndmask_b32_e32 v7, v1, v3, vcc
	v_sqrt_f32_e32 v8, v7
	v_mov_b32_e32 v3, 0x260
	v_mov_b32_e32 v1, 1
	v_add_u32_e32 v9, -1, v8
	v_add_u32_e32 v10, 1, v8
	v_fma_f32 v11, -v9, v8, v7
	v_fma_f32 v12, -v10, v8, v7
	v_cmp_ge_f32_e64 s[0:1], 0, v11
	v_cndmask_b32_e64 v8, v8, v9, s[0:1]
	v_cmp_lt_f32_e64 s[0:1], 0, v12
	v_cndmask_b32_e64 v8, v8, v10, s[0:1]
	v_mul_f32_e32 v9, 0x37800000, v8
	v_cndmask_b32_e32 v8, v8, v9, vcc
	v_cmp_class_f32_e32 vcc, v7, v3
	v_cndmask_b32_e32 v7, v8, v7, vcc
	v_cmp_ge_f32_e32 vcc, 4.0, v7
	s_and_saveexec_b64 s[2:3], vcc
	s_cbranch_execz .LBB0_21
; %bb.2:
	s_load_dwordx2 s[8:9], s[4:5], 0x8
	v_mul_f32_e32 v1, v5, v5
	v_sub_f32_e32 v1, v1, v6
	v_mul_f32_e32 v5, v4, v5
	s_waitcnt lgkmcnt(0)
	v_add_f32_e32 v4, s8, v1
	v_fma_f32 v5, v5, 2.0, s9
	v_mul_f32_e32 v6, v4, v4
	v_fma_f32 v1, v5, v5, v6
	v_mul_f32_e32 v7, 0x4f800000, v1
	v_cmp_gt_f32_e32 vcc, s6, v1
	v_cndmask_b32_e32 v1, v1, v7, vcc
	v_sqrt_f32_e32 v7, v1
	v_add_u32_e32 v8, -1, v7
	v_fma_f32 v10, -v8, v7, v1
	v_add_u32_e32 v9, 1, v7
	v_cmp_ge_f32_e64 s[0:1], 0, v10
	v_cndmask_b32_e64 v8, v7, v8, s[0:1]
	v_fma_f32 v7, -v9, v7, v1
	v_cmp_lt_f32_e64 s[0:1], 0, v7
	v_cndmask_b32_e64 v7, v8, v9, s[0:1]
	v_mul_f32_e32 v8, 0x37800000, v7
	v_cndmask_b32_e32 v7, v7, v8, vcc
	v_cmp_class_f32_e32 vcc, v1, v3
	v_cndmask_b32_e32 v1, v7, v1, vcc
	v_cmp_ge_f32_e32 vcc, 4.0, v1
	v_mov_b32_e32 v1, 2
	s_and_saveexec_b64 s[6:7], vcc
	s_cbranch_execz .LBB0_20
; %bb.3:
	v_mul_f32_e32 v1, v5, v5
	v_mul_f32_e32 v4, v5, v4
	v_sub_f32_e32 v1, v6, v1
	v_fma_f32 v5, v4, 2.0, s9
	v_add_f32_e32 v3, s8, v1
	v_mul_f32_e32 v6, v5, v5
	v_fma_f32 v1, v3, v3, v6
	s_mov_b32 s12, 0xf800000
	v_mul_f32_e32 v4, 0x4f800000, v1
	v_cmp_gt_f32_e32 vcc, s12, v1
	v_cndmask_b32_e32 v1, v1, v4, vcc
	v_sqrt_f32_e32 v4, v1
	v_add_u32_e32 v7, -1, v4
	v_fma_f32 v8, -v7, v4, v1
	v_cmp_ge_f32_e64 s[0:1], 0, v8
	v_add_u32_e32 v8, 1, v4
	v_cndmask_b32_e64 v7, v4, v7, s[0:1]
	v_fma_f32 v4, -v8, v4, v1
	v_cmp_lt_f32_e64 s[0:1], 0, v4
	v_cndmask_b32_e64 v4, v7, v8, s[0:1]
	v_mul_f32_e32 v7, 0x37800000, v4
	v_cndmask_b32_e32 v7, v4, v7, vcc
	v_mov_b32_e32 v4, 0x260
	v_cmp_class_f32_e32 vcc, v1, v4
	v_cndmask_b32_e32 v1, v7, v1, vcc
	v_cmp_ge_f32_e32 vcc, 4.0, v1
	v_mov_b32_e32 v1, 3
	s_and_saveexec_b64 s[10:11], vcc
	s_cbranch_execz .LBB0_19
; %bb.4:
	v_mul_f32_e32 v1, v3, v3
	v_mul_f32_e32 v5, v5, v3
	v_sub_f32_e32 v1, v1, v6
	v_fma_f32 v5, v5, 2.0, s9
	v_add_f32_e32 v3, s8, v1
	v_mul_f32_e32 v6, v5, v5
	v_fma_f32 v1, v3, v3, v6
	v_mul_f32_e32 v7, 0x4f800000, v1
	v_cmp_gt_f32_e32 vcc, s12, v1
	v_cndmask_b32_e32 v1, v1, v7, vcc
	v_sqrt_f32_e32 v7, v1
	v_add_u32_e32 v8, -1, v7
	v_fma_f32 v9, -v8, v7, v1
	v_cmp_ge_f32_e64 s[0:1], 0, v9
	v_add_u32_e32 v9, 1, v7
	v_cndmask_b32_e64 v8, v7, v8, s[0:1]
	v_fma_f32 v7, -v9, v7, v1
	v_cmp_lt_f32_e64 s[0:1], 0, v7
	v_cndmask_b32_e64 v7, v8, v9, s[0:1]
	v_mul_f32_e32 v8, 0x37800000, v7
	v_cndmask_b32_e32 v7, v7, v8, vcc
	v_cmp_class_f32_e32 vcc, v1, v4
	v_cndmask_b32_e32 v1, v7, v1, vcc
	v_cmp_ge_f32_e32 vcc, 4.0, v1
	v_mov_b32_e32 v1, 4
	s_and_saveexec_b64 s[12:13], vcc
	s_cbranch_execz .LBB0_18
; %bb.5:
	v_mul_f32_e32 v1, v3, v3
	v_mul_f32_e32 v4, v5, v3
	v_sub_f32_e32 v1, v1, v6
	v_fma_f32 v5, v4, 2.0, s9
	v_add_f32_e32 v3, s8, v1
	v_mul_f32_e32 v6, v5, v5
	v_fma_f32 v1, v3, v3, v6
	s_mov_b32 s16, 0xf800000
	v_mul_f32_e32 v4, 0x4f800000, v1
	v_cmp_gt_f32_e32 vcc, s16, v1
	v_cndmask_b32_e32 v1, v1, v4, vcc
	v_sqrt_f32_e32 v4, v1
	v_add_u32_e32 v7, -1, v4
	v_fma_f32 v8, -v7, v4, v1
	v_cmp_ge_f32_e64 s[0:1], 0, v8
	v_add_u32_e32 v8, 1, v4
	v_cndmask_b32_e64 v7, v4, v7, s[0:1]
	v_fma_f32 v4, -v8, v4, v1
	v_cmp_lt_f32_e64 s[0:1], 0, v4
	v_cndmask_b32_e64 v4, v7, v8, s[0:1]
	v_mul_f32_e32 v7, 0x37800000, v4
	v_cndmask_b32_e32 v7, v4, v7, vcc
	v_mov_b32_e32 v4, 0x260
	v_cmp_class_f32_e32 vcc, v1, v4
	v_cndmask_b32_e32 v1, v7, v1, vcc
	v_cmp_ge_f32_e32 vcc, 4.0, v1
	v_mov_b32_e32 v1, 5
	s_and_saveexec_b64 s[14:15], vcc
	s_cbranch_execz .LBB0_17
; %bb.6:
	v_mul_f32_e32 v1, v3, v3
	v_mul_f32_e32 v5, v5, v3
	v_sub_f32_e32 v1, v1, v6
	v_fma_f32 v5, v5, 2.0, s9
	v_add_f32_e32 v3, s8, v1
	v_mul_f32_e32 v6, v5, v5
	v_fma_f32 v1, v3, v3, v6
	v_mul_f32_e32 v7, 0x4f800000, v1
	v_cmp_gt_f32_e32 vcc, s16, v1
	v_cndmask_b32_e32 v1, v1, v7, vcc
	v_sqrt_f32_e32 v7, v1
	v_add_u32_e32 v8, -1, v7
	v_fma_f32 v9, -v8, v7, v1
	v_cmp_ge_f32_e64 s[0:1], 0, v9
	v_add_u32_e32 v9, 1, v7
	;; [unrolled: 58-line block ×3, first 2 shown]
	v_cndmask_b32_e64 v8, v7, v8, s[0:1]
	v_fma_f32 v7, -v9, v7, v1
	v_cmp_lt_f32_e64 s[0:1], 0, v7
	v_cndmask_b32_e64 v7, v8, v9, s[0:1]
	v_mul_f32_e32 v8, 0x37800000, v7
	v_cndmask_b32_e32 v7, v7, v8, vcc
	v_cmp_class_f32_e32 vcc, v1, v4
	v_cndmask_b32_e32 v1, v7, v1, vcc
	v_cmp_ge_f32_e32 vcc, 4.0, v1
	v_mov_b32_e32 v1, 8
	s_and_saveexec_b64 s[20:21], vcc
	s_cbranch_execz .LBB0_14
; %bb.9:
	v_mul_f32_e32 v1, v3, v3
	v_mul_f32_e32 v3, v5, v3
	v_sub_f32_e32 v1, v1, v6
	v_fma_f32 v5, v3, 2.0, s9
	v_add_f32_e32 v4, s8, v1
	v_mul_f32_e32 v6, v5, v5
	v_fma_f32 v1, v4, v4, v6
	s_mov_b32 s24, 0xf800000
	v_mul_f32_e32 v3, 0x4f800000, v1
	v_cmp_gt_f32_e32 vcc, s24, v1
	v_cndmask_b32_e32 v1, v1, v3, vcc
	v_sqrt_f32_e32 v3, v1
	v_add_u32_e32 v7, -1, v3
	v_fma_f32 v8, -v7, v3, v1
	v_cmp_ge_f32_e64 s[0:1], 0, v8
	v_add_u32_e32 v8, 1, v3
	v_cndmask_b32_e64 v7, v3, v7, s[0:1]
	v_fma_f32 v3, -v8, v3, v1
	v_cmp_lt_f32_e64 s[0:1], 0, v3
	v_cndmask_b32_e64 v3, v7, v8, s[0:1]
	v_mul_f32_e32 v7, 0x37800000, v3
	v_cndmask_b32_e32 v7, v3, v7, vcc
	v_mov_b32_e32 v3, 0x260
	v_cmp_class_f32_e32 vcc, v1, v3
	v_cndmask_b32_e32 v1, v7, v1, vcc
	v_cmp_ge_f32_e32 vcc, 4.0, v1
	v_mov_b32_e32 v1, 9
	s_and_saveexec_b64 s[22:23], vcc
	s_cbranch_execz .LBB0_13
; %bb.10:
	v_mul_f32_e32 v1, v4, v4
	v_mul_f32_e32 v4, v5, v4
	v_sub_f32_e32 v1, v1, v6
	v_fma_f32 v4, v4, 2.0, s9
	v_add_f32_e32 v1, s8, v1
	v_mul_f32_e32 v4, v4, v4
	v_fmac_f32_e32 v4, v1, v1
	v_mul_f32_e32 v1, 0x4f800000, v4
	v_cmp_gt_f32_e32 vcc, s24, v4
	v_cndmask_b32_e32 v1, v4, v1, vcc
	v_sqrt_f32_e32 v4, v1
	v_add_u32_e32 v5, -1, v4
	v_fma_f32 v6, -v5, v4, v1
	v_cmp_ge_f32_e64 s[0:1], 0, v6
	v_add_u32_e32 v6, 1, v4
	v_cndmask_b32_e64 v5, v4, v5, s[0:1]
	v_fma_f32 v4, -v6, v4, v1
	v_cmp_lt_f32_e64 s[0:1], 0, v4
	v_cndmask_b32_e64 v4, v5, v6, s[0:1]
	v_mul_f32_e32 v5, 0x37800000, v4
	v_cndmask_b32_e32 v4, v4, v5, vcc
	v_cmp_class_f32_e32 vcc, v1, v3
	v_cndmask_b32_e32 v1, v4, v1, vcc
	v_cmp_ge_f32_e32 vcc, 4.0, v1
	v_mov_b32_e32 v1, 10
	s_and_saveexec_b64 s[0:1], vcc
; %bb.11:
	v_mov_b32_e32 v1, 11
; %bb.12:
	s_or_b64 exec, exec, s[0:1]
.LBB0_13:
	s_or_b64 exec, exec, s[22:23]
.LBB0_14:
	s_or_b64 exec, exec, s[20:21]
.LBB0_15:
	s_or_b64 exec, exec, s[18:19]
.LBB0_16:
	s_or_b64 exec, exec, s[16:17]
.LBB0_17:
	s_or_b64 exec, exec, s[14:15]
.LBB0_18:
	s_or_b64 exec, exec, s[12:13]
.LBB0_19:
	s_or_b64 exec, exec, s[10:11]
.LBB0_20:
	s_or_b64 exec, exec, s[6:7]
.LBB0_21:
	s_or_b64 exec, exec, s[2:3]
	v_mad_u64_u32 v[2:3], s[0:1], v2, 40, v[0:1]
	s_load_dwordx2 s[0:1], s[4:5], 0x0
	v_ashrrev_i32_e32 v3, 31, v2
	v_lshlrev_b64 v[2:3], 2, v[2:3]
	s_waitcnt lgkmcnt(0)
	v_mov_b32_e32 v0, s1
	v_add_co_u32_e32 v2, vcc, s0, v2
	v_addc_co_u32_e32 v3, vcc, v0, v3, vcc
	global_store_dword v[2:3], v1, off
.LBB0_22:
	s_endpgm
	.section	.rodata,"a",@progbits
	.p2align	6, 0x0
	.amdhsa_kernel _Z12computeJuliaPi15HIP_vector_typeIfLj2EEf
		.amdhsa_group_segment_fixed_size 0
		.amdhsa_private_segment_fixed_size 0
		.amdhsa_kernarg_size 280
		.amdhsa_user_sgpr_count 6
		.amdhsa_user_sgpr_private_segment_buffer 1
		.amdhsa_user_sgpr_dispatch_ptr 0
		.amdhsa_user_sgpr_queue_ptr 0
		.amdhsa_user_sgpr_kernarg_segment_ptr 1
		.amdhsa_user_sgpr_dispatch_id 0
		.amdhsa_user_sgpr_flat_scratch_init 0
		.amdhsa_user_sgpr_private_segment_size 0
		.amdhsa_uses_dynamic_stack 0
		.amdhsa_system_sgpr_private_segment_wavefront_offset 0
		.amdhsa_system_sgpr_workgroup_id_x 1
		.amdhsa_system_sgpr_workgroup_id_y 1
		.amdhsa_system_sgpr_workgroup_id_z 0
		.amdhsa_system_sgpr_workgroup_info 0
		.amdhsa_system_vgpr_workitem_id 1
		.amdhsa_next_free_vgpr 21
		.amdhsa_next_free_sgpr 25
		.amdhsa_reserve_vcc 1
		.amdhsa_reserve_flat_scratch 0
		.amdhsa_float_round_mode_32 0
		.amdhsa_float_round_mode_16_64 0
		.amdhsa_float_denorm_mode_32 3
		.amdhsa_float_denorm_mode_16_64 3
		.amdhsa_dx10_clamp 1
		.amdhsa_ieee_mode 1
		.amdhsa_fp16_overflow 0
		.amdhsa_exception_fp_ieee_invalid_op 0
		.amdhsa_exception_fp_denorm_src 0
		.amdhsa_exception_fp_ieee_div_zero 0
		.amdhsa_exception_fp_ieee_overflow 0
		.amdhsa_exception_fp_ieee_underflow 0
		.amdhsa_exception_fp_ieee_inexact 0
		.amdhsa_exception_int_div_zero 0
	.end_amdhsa_kernel
	.text
.Lfunc_end0:
	.size	_Z12computeJuliaPi15HIP_vector_typeIfLj2EEf, .Lfunc_end0-_Z12computeJuliaPi15HIP_vector_typeIfLj2EEf
                                        ; -- End function
	.set _Z12computeJuliaPi15HIP_vector_typeIfLj2EEf.num_vgpr, 21
	.set _Z12computeJuliaPi15HIP_vector_typeIfLj2EEf.num_agpr, 0
	.set _Z12computeJuliaPi15HIP_vector_typeIfLj2EEf.numbered_sgpr, 25
	.set _Z12computeJuliaPi15HIP_vector_typeIfLj2EEf.num_named_barrier, 0
	.set _Z12computeJuliaPi15HIP_vector_typeIfLj2EEf.private_seg_size, 0
	.set _Z12computeJuliaPi15HIP_vector_typeIfLj2EEf.uses_vcc, 1
	.set _Z12computeJuliaPi15HIP_vector_typeIfLj2EEf.uses_flat_scratch, 0
	.set _Z12computeJuliaPi15HIP_vector_typeIfLj2EEf.has_dyn_sized_stack, 0
	.set _Z12computeJuliaPi15HIP_vector_typeIfLj2EEf.has_recursion, 0
	.set _Z12computeJuliaPi15HIP_vector_typeIfLj2EEf.has_indirect_call, 0
	.section	.AMDGPU.csdata,"",@progbits
; Kernel info:
; codeLenInByte = 2004
; TotalNumSgprs: 29
; NumVgprs: 21
; ScratchSize: 0
; MemoryBound: 0
; FloatMode: 240
; IeeeMode: 1
; LDSByteSize: 0 bytes/workgroup (compile time only)
; SGPRBlocks: 3
; VGPRBlocks: 5
; NumSGPRsForWavesPerEU: 29
; NumVGPRsForWavesPerEU: 21
; Occupancy: 10
; WaveLimiterHint : 0
; COMPUTE_PGM_RSRC2:SCRATCH_EN: 0
; COMPUTE_PGM_RSRC2:USER_SGPR: 6
; COMPUTE_PGM_RSRC2:TRAP_HANDLER: 0
; COMPUTE_PGM_RSRC2:TGID_X_EN: 1
; COMPUTE_PGM_RSRC2:TGID_Y_EN: 1
; COMPUTE_PGM_RSRC2:TGID_Z_EN: 0
; COMPUTE_PGM_RSRC2:TIDIG_COMP_CNT: 1
	.section	.AMDGPU.gpr_maximums,"",@progbits
	.set amdgpu.max_num_vgpr, 0
	.set amdgpu.max_num_agpr, 0
	.set amdgpu.max_num_sgpr, 0
	.section	.AMDGPU.csdata,"",@progbits
	.type	__hip_cuid_c98b5a4c1610a6ac,@object ; @__hip_cuid_c98b5a4c1610a6ac
	.section	.bss,"aw",@nobits
	.globl	__hip_cuid_c98b5a4c1610a6ac
__hip_cuid_c98b5a4c1610a6ac:
	.byte	0                               ; 0x0
	.size	__hip_cuid_c98b5a4c1610a6ac, 1

	.ident	"AMD clang version 22.0.0git (https://github.com/RadeonOpenCompute/llvm-project roc-7.2.4 26084 f58b06dce1f9c15707c5f808fd002e18c2accf7e)"
	.section	".note.GNU-stack","",@progbits
	.addrsig
	.addrsig_sym __hip_cuid_c98b5a4c1610a6ac
	.amdgpu_metadata
---
amdhsa.kernels:
  - .args:
      - .address_space:  global
        .offset:         0
        .size:           8
        .value_kind:     global_buffer
      - .offset:         8
        .size:           8
        .value_kind:     by_value
      - .offset:         16
        .size:           4
        .value_kind:     by_value
      - .offset:         24
        .size:           4
        .value_kind:     hidden_block_count_x
      - .offset:         28
        .size:           4
        .value_kind:     hidden_block_count_y
      - .offset:         32
        .size:           4
        .value_kind:     hidden_block_count_z
      - .offset:         36
        .size:           2
        .value_kind:     hidden_group_size_x
      - .offset:         38
        .size:           2
        .value_kind:     hidden_group_size_y
      - .offset:         40
        .size:           2
        .value_kind:     hidden_group_size_z
      - .offset:         42
        .size:           2
        .value_kind:     hidden_remainder_x
      - .offset:         44
        .size:           2
        .value_kind:     hidden_remainder_y
      - .offset:         46
        .size:           2
        .value_kind:     hidden_remainder_z
      - .offset:         64
        .size:           8
        .value_kind:     hidden_global_offset_x
      - .offset:         72
        .size:           8
        .value_kind:     hidden_global_offset_y
      - .offset:         80
        .size:           8
        .value_kind:     hidden_global_offset_z
      - .offset:         88
        .size:           2
        .value_kind:     hidden_grid_dims
    .group_segment_fixed_size: 0
    .kernarg_segment_align: 8
    .kernarg_segment_size: 280
    .language:       OpenCL C
    .language_version:
      - 2
      - 0
    .max_flat_workgroup_size: 1024
    .name:           _Z12computeJuliaPi15HIP_vector_typeIfLj2EEf
    .private_segment_fixed_size: 0
    .sgpr_count:     29
    .sgpr_spill_count: 0
    .symbol:         _Z12computeJuliaPi15HIP_vector_typeIfLj2EEf.kd
    .uniform_work_group_size: 1
    .uses_dynamic_stack: false
    .vgpr_count:     21
    .vgpr_spill_count: 0
    .wavefront_size: 64
amdhsa.target:   amdgcn-amd-amdhsa--gfx906
amdhsa.version:
  - 1
  - 2
...

	.end_amdgpu_metadata
